;; amdgpu-corpus repo=ROCm/rocFFT kind=compiled arch=gfx906 opt=O3
	.text
	.amdgcn_target "amdgcn-amd-amdhsa--gfx906"
	.amdhsa_code_object_version 6
	.protected	fft_rtc_back_len200_factors_10_10_2_wgs_60_tpt_20_halfLds_dp_ip_CI_unitstride_sbrr_R2C_dirReg ; -- Begin function fft_rtc_back_len200_factors_10_10_2_wgs_60_tpt_20_halfLds_dp_ip_CI_unitstride_sbrr_R2C_dirReg
	.globl	fft_rtc_back_len200_factors_10_10_2_wgs_60_tpt_20_halfLds_dp_ip_CI_unitstride_sbrr_R2C_dirReg
	.p2align	8
	.type	fft_rtc_back_len200_factors_10_10_2_wgs_60_tpt_20_halfLds_dp_ip_CI_unitstride_sbrr_R2C_dirReg,@function
fft_rtc_back_len200_factors_10_10_2_wgs_60_tpt_20_halfLds_dp_ip_CI_unitstride_sbrr_R2C_dirReg: ; @fft_rtc_back_len200_factors_10_10_2_wgs_60_tpt_20_halfLds_dp_ip_CI_unitstride_sbrr_R2C_dirReg
; %bb.0:
	s_load_dwordx2 s[2:3], s[4:5], 0x50
	s_load_dwordx4 s[8:11], s[4:5], 0x0
	s_load_dwordx2 s[12:13], s[4:5], 0x18
	v_mul_u32_u24_e32 v1, 0xccd, v0
	v_lshrrev_b32_e32 v1, 16, v1
	v_mad_u64_u32 v[1:2], s[0:1], s6, 3, v[1:2]
	v_mov_b32_e32 v5, 0
	s_waitcnt lgkmcnt(0)
	v_cmp_lt_u64_e64 s[0:1], s[10:11], 2
	v_mov_b32_e32 v2, v5
	v_mov_b32_e32 v3, 0
	;; [unrolled: 1-line block ×3, first 2 shown]
	s_and_b64 vcc, exec, s[0:1]
	v_mov_b32_e32 v4, 0
	v_mov_b32_e32 v9, v1
	s_cbranch_vccnz .LBB0_8
; %bb.1:
	s_load_dwordx2 s[0:1], s[4:5], 0x10
	s_add_u32 s6, s12, 8
	s_addc_u32 s7, s13, 0
	v_mov_b32_e32 v3, 0
	v_mov_b32_e32 v8, v2
	s_waitcnt lgkmcnt(0)
	s_add_u32 s16, s0, 8
	s_mov_b64 s[14:15], 1
	v_mov_b32_e32 v4, 0
	s_addc_u32 s17, s1, 0
	v_mov_b32_e32 v7, v1
.LBB0_2:                                ; =>This Inner Loop Header: Depth=1
	s_load_dwordx2 s[18:19], s[16:17], 0x0
                                        ; implicit-def: $vgpr9_vgpr10
	s_waitcnt lgkmcnt(0)
	v_or_b32_e32 v6, s19, v8
	v_cmp_ne_u64_e32 vcc, 0, v[5:6]
	s_and_saveexec_b64 s[0:1], vcc
	s_xor_b64 s[20:21], exec, s[0:1]
	s_cbranch_execz .LBB0_4
; %bb.3:                                ;   in Loop: Header=BB0_2 Depth=1
	v_cvt_f32_u32_e32 v2, s18
	v_cvt_f32_u32_e32 v6, s19
	s_sub_u32 s0, 0, s18
	s_subb_u32 s1, 0, s19
	v_mac_f32_e32 v2, 0x4f800000, v6
	v_rcp_f32_e32 v2, v2
	v_mul_f32_e32 v2, 0x5f7ffffc, v2
	v_mul_f32_e32 v6, 0x2f800000, v2
	v_trunc_f32_e32 v6, v6
	v_mac_f32_e32 v2, 0xcf800000, v6
	v_cvt_u32_f32_e32 v6, v6
	v_cvt_u32_f32_e32 v2, v2
	v_mul_lo_u32 v9, s0, v6
	v_mul_hi_u32 v10, s0, v2
	v_mul_lo_u32 v12, s1, v2
	v_mul_lo_u32 v11, s0, v2
	v_add_u32_e32 v9, v10, v9
	v_add_u32_e32 v9, v9, v12
	v_mul_hi_u32 v10, v2, v11
	v_mul_lo_u32 v12, v2, v9
	v_mul_hi_u32 v14, v2, v9
	v_mul_hi_u32 v13, v6, v11
	v_mul_lo_u32 v11, v6, v11
	v_mul_hi_u32 v15, v6, v9
	v_add_co_u32_e32 v10, vcc, v10, v12
	v_addc_co_u32_e32 v12, vcc, 0, v14, vcc
	v_mul_lo_u32 v9, v6, v9
	v_add_co_u32_e32 v10, vcc, v10, v11
	v_addc_co_u32_e32 v10, vcc, v12, v13, vcc
	v_addc_co_u32_e32 v11, vcc, 0, v15, vcc
	v_add_co_u32_e32 v9, vcc, v10, v9
	v_addc_co_u32_e32 v10, vcc, 0, v11, vcc
	v_add_co_u32_e32 v2, vcc, v2, v9
	v_addc_co_u32_e32 v6, vcc, v6, v10, vcc
	v_mul_lo_u32 v9, s0, v6
	v_mul_hi_u32 v10, s0, v2
	v_mul_lo_u32 v11, s1, v2
	v_mul_lo_u32 v12, s0, v2
	v_add_u32_e32 v9, v10, v9
	v_add_u32_e32 v9, v9, v11
	v_mul_lo_u32 v13, v2, v9
	v_mul_hi_u32 v14, v2, v12
	v_mul_hi_u32 v15, v2, v9
	;; [unrolled: 1-line block ×3, first 2 shown]
	v_mul_lo_u32 v12, v6, v12
	v_mul_hi_u32 v10, v6, v9
	v_add_co_u32_e32 v13, vcc, v14, v13
	v_addc_co_u32_e32 v14, vcc, 0, v15, vcc
	v_mul_lo_u32 v9, v6, v9
	v_add_co_u32_e32 v12, vcc, v13, v12
	v_addc_co_u32_e32 v11, vcc, v14, v11, vcc
	v_addc_co_u32_e32 v10, vcc, 0, v10, vcc
	v_add_co_u32_e32 v9, vcc, v11, v9
	v_addc_co_u32_e32 v10, vcc, 0, v10, vcc
	v_add_co_u32_e32 v2, vcc, v2, v9
	v_addc_co_u32_e32 v6, vcc, v6, v10, vcc
	v_mad_u64_u32 v[9:10], s[0:1], v7, v6, 0
	v_mul_hi_u32 v11, v7, v2
	v_add_co_u32_e32 v13, vcc, v11, v9
	v_addc_co_u32_e32 v14, vcc, 0, v10, vcc
	v_mad_u64_u32 v[9:10], s[0:1], v8, v2, 0
	v_mad_u64_u32 v[11:12], s[0:1], v8, v6, 0
	v_add_co_u32_e32 v2, vcc, v13, v9
	v_addc_co_u32_e32 v2, vcc, v14, v10, vcc
	v_addc_co_u32_e32 v6, vcc, 0, v12, vcc
	v_add_co_u32_e32 v2, vcc, v2, v11
	v_addc_co_u32_e32 v6, vcc, 0, v6, vcc
	v_mul_lo_u32 v11, s19, v2
	v_mul_lo_u32 v12, s18, v6
	v_mad_u64_u32 v[9:10], s[0:1], s18, v2, 0
	v_add3_u32 v10, v10, v12, v11
	v_sub_u32_e32 v11, v8, v10
	v_mov_b32_e32 v12, s19
	v_sub_co_u32_e32 v9, vcc, v7, v9
	v_subb_co_u32_e64 v11, s[0:1], v11, v12, vcc
	v_subrev_co_u32_e64 v12, s[0:1], s18, v9
	v_subbrev_co_u32_e64 v11, s[0:1], 0, v11, s[0:1]
	v_cmp_le_u32_e64 s[0:1], s19, v11
	v_cndmask_b32_e64 v13, 0, -1, s[0:1]
	v_cmp_le_u32_e64 s[0:1], s18, v12
	v_cndmask_b32_e64 v12, 0, -1, s[0:1]
	v_cmp_eq_u32_e64 s[0:1], s19, v11
	v_cndmask_b32_e64 v11, v13, v12, s[0:1]
	v_add_co_u32_e64 v12, s[0:1], 2, v2
	v_addc_co_u32_e64 v13, s[0:1], 0, v6, s[0:1]
	v_add_co_u32_e64 v14, s[0:1], 1, v2
	v_addc_co_u32_e64 v15, s[0:1], 0, v6, s[0:1]
	v_subb_co_u32_e32 v10, vcc, v8, v10, vcc
	v_cmp_ne_u32_e64 s[0:1], 0, v11
	v_cmp_le_u32_e32 vcc, s19, v10
	v_cndmask_b32_e64 v11, v15, v13, s[0:1]
	v_cndmask_b32_e64 v13, 0, -1, vcc
	v_cmp_le_u32_e32 vcc, s18, v9
	v_cndmask_b32_e64 v9, 0, -1, vcc
	v_cmp_eq_u32_e32 vcc, s19, v10
	v_cndmask_b32_e32 v9, v13, v9, vcc
	v_cmp_ne_u32_e32 vcc, 0, v9
	v_cndmask_b32_e32 v10, v6, v11, vcc
	v_cndmask_b32_e64 v6, v14, v12, s[0:1]
	v_cndmask_b32_e32 v9, v2, v6, vcc
.LBB0_4:                                ;   in Loop: Header=BB0_2 Depth=1
	s_andn2_saveexec_b64 s[0:1], s[20:21]
	s_cbranch_execz .LBB0_6
; %bb.5:                                ;   in Loop: Header=BB0_2 Depth=1
	v_cvt_f32_u32_e32 v2, s18
	s_sub_i32 s20, 0, s18
	v_rcp_iflag_f32_e32 v2, v2
	v_mul_f32_e32 v2, 0x4f7ffffe, v2
	v_cvt_u32_f32_e32 v2, v2
	v_mul_lo_u32 v6, s20, v2
	v_mul_hi_u32 v6, v2, v6
	v_add_u32_e32 v2, v2, v6
	v_mul_hi_u32 v2, v7, v2
	v_mul_lo_u32 v6, v2, s18
	v_add_u32_e32 v9, 1, v2
	v_sub_u32_e32 v6, v7, v6
	v_subrev_u32_e32 v10, s18, v6
	v_cmp_le_u32_e32 vcc, s18, v6
	v_cndmask_b32_e32 v6, v6, v10, vcc
	v_cndmask_b32_e32 v2, v2, v9, vcc
	v_add_u32_e32 v9, 1, v2
	v_cmp_le_u32_e32 vcc, s18, v6
	v_cndmask_b32_e32 v9, v2, v9, vcc
	v_mov_b32_e32 v10, v5
.LBB0_6:                                ;   in Loop: Header=BB0_2 Depth=1
	s_or_b64 exec, exec, s[0:1]
	v_mul_lo_u32 v2, v10, s18
	v_mul_lo_u32 v6, v9, s19
	v_mad_u64_u32 v[11:12], s[0:1], v9, s18, 0
	s_load_dwordx2 s[0:1], s[6:7], 0x0
	s_add_u32 s14, s14, 1
	v_add3_u32 v2, v12, v6, v2
	v_sub_co_u32_e32 v6, vcc, v7, v11
	v_subb_co_u32_e32 v2, vcc, v8, v2, vcc
	s_waitcnt lgkmcnt(0)
	v_mul_lo_u32 v2, s0, v2
	v_mul_lo_u32 v7, s1, v6
	v_mad_u64_u32 v[3:4], s[0:1], s0, v6, v[3:4]
	s_addc_u32 s15, s15, 0
	s_add_u32 s6, s6, 8
	v_add3_u32 v4, v7, v4, v2
	v_mov_b32_e32 v6, s10
	v_mov_b32_e32 v7, s11
	s_addc_u32 s7, s7, 0
	v_cmp_ge_u64_e32 vcc, s[14:15], v[6:7]
	s_add_u32 s16, s16, 8
	s_addc_u32 s17, s17, 0
	s_cbranch_vccnz .LBB0_8
; %bb.7:                                ;   in Loop: Header=BB0_2 Depth=1
	v_mov_b32_e32 v7, v9
	v_mov_b32_e32 v8, v10
	s_branch .LBB0_2
.LBB0_8:
	s_lshl_b64 s[0:1], s[10:11], 3
	s_add_u32 s0, s12, s0
	s_addc_u32 s1, s13, s1
	s_load_dwordx2 s[0:1], s[0:1], 0x0
	s_mov_b32 s6, 0xaaaaaaab
	v_mul_hi_u32 v2, v1, s6
	s_waitcnt lgkmcnt(0)
	v_mul_lo_u32 v5, s0, v10
	v_mul_lo_u32 v6, s1, v9
	v_mad_u64_u32 v[11:12], s[0:1], s0, v9, v[3:4]
	s_load_dwordx2 s[0:1], s[4:5], 0x20
	s_mov_b32 s4, 0xccccccd
	v_mul_hi_u32 v3, v0, s4
	v_lshrrev_b32_e32 v2, 1, v2
	v_lshl_add_u32 v2, v2, 1, v2
	v_sub_u32_e32 v13, v1, v2
	v_mul_u32_u24_e32 v1, 20, v3
	s_waitcnt lgkmcnt(0)
	v_cmp_gt_u64_e32 vcc, s[0:1], v[9:10]
	v_cmp_le_u64_e64 s[0:1], s[0:1], v[9:10]
	v_sub_u32_e32 v8, v0, v1
	v_add3_u32 v12, v6, v12, v5
	v_add_u32_e32 v6, 20, v8
	v_add_u32_e32 v2, 40, v8
	;; [unrolled: 1-line block ×3, first 2 shown]
                                        ; implicit-def: $vgpr4
	s_and_saveexec_b64 s[4:5], s[0:1]
	s_xor_b64 s[0:1], exec, s[4:5]
; %bb.9:
	v_mov_b32_e32 v9, 0
	v_add_u32_e32 v6, 20, v8
	v_add_u32_e32 v2, 40, v8
	;; [unrolled: 1-line block ×4, first 2 shown]
	v_mov_b32_e32 v7, v9
	v_mov_b32_e32 v3, v9
	;; [unrolled: 1-line block ×4, first 2 shown]
; %bb.10:
	s_or_saveexec_b64 s[4:5], s[0:1]
	v_mul_u32_u24_e32 v13, 0xc9, v13
	v_lshlrev_b64 v[10:11], 4, v[11:12]
	v_lshlrev_b32_e32 v12, 4, v13
	v_lshlrev_b32_e32 v22, 4, v8
	s_xor_b64 exec, exec, s[4:5]
	s_cbranch_execz .LBB0_12
; %bb.11:
	v_mov_b32_e32 v9, 0
	v_mov_b32_e32 v1, s3
	v_add_co_u32_e64 v5, s[0:1], s2, v10
	v_lshlrev_b64 v[3:4], 4, v[8:9]
	v_addc_co_u32_e64 v1, s[0:1], v1, v11, s[0:1]
	v_add_co_u32_e64 v3, s[0:1], v5, v3
	v_addc_co_u32_e64 v4, s[0:1], v1, v4, s[0:1]
	global_load_dwordx4 v[13:16], v[3:4], off
	global_load_dwordx4 v[17:20], v[3:4], off offset:320
	global_load_dwordx4 v[23:26], v[3:4], off offset:640
	;; [unrolled: 1-line block ×9, first 2 shown]
	v_add3_u32 v21, 0, v12, v22
	v_add_u32_e32 v4, 0x50, v8
	v_mov_b32_e32 v7, v9
	v_mov_b32_e32 v3, v9
	;; [unrolled: 1-line block ×4, first 2 shown]
	s_waitcnt vmcnt(9)
	ds_write_b128 v21, v[13:16]
	s_waitcnt vmcnt(8)
	ds_write_b128 v21, v[17:20] offset:320
	s_waitcnt vmcnt(7)
	ds_write_b128 v21, v[23:26] offset:640
	;; [unrolled: 2-line block ×9, first 2 shown]
.LBB0_12:
	s_or_b64 exec, exec, s[4:5]
	v_add_u32_e32 v27, 0, v12
	v_add3_u32 v23, 0, v22, v12
	s_waitcnt lgkmcnt(0)
	; wave barrier
	s_waitcnt lgkmcnt(0)
	v_add_u32_e32 v26, v27, v22
	ds_read_b128 v[13:16], v23 offset:640
	ds_read_b128 v[17:20], v26
	ds_read_b128 v[28:31], v23 offset:320
	ds_read_b128 v[32:35], v23 offset:960
	;; [unrolled: 1-line block ×6, first 2 shown]
	s_mov_b32 s10, 0x134454ff
	s_waitcnt lgkmcnt(6)
	v_add_f64 v[24:25], v[17:18], v[13:14]
	v_add_f64 v[52:53], v[19:20], v[15:16]
	s_waitcnt lgkmcnt(2)
	v_add_f64 v[56:57], v[40:41], v[36:37]
	v_add_f64 v[60:61], v[42:43], -v[38:39]
	v_add_f64 v[62:63], v[13:14], -v[40:41]
	v_add_f64 v[64:65], v[40:41], -v[13:14]
	v_add_f64 v[66:67], v[42:43], v[38:39]
	v_add_f64 v[68:69], v[40:41], -v[36:37]
	v_add_f64 v[24:25], v[24:25], v[40:41]
	v_add_f64 v[58:59], v[52:53], v[42:43]
	ds_read_b128 v[52:55], v23 offset:2560
	v_add_f64 v[70:71], v[15:16], -v[42:43]
	v_add_f64 v[72:73], v[42:43], -v[15:16]
	ds_read_b128 v[40:43], v23 offset:2880
	v_add_f64 v[80:81], v[30:31], v[34:35]
	s_waitcnt lgkmcnt(1)
	v_add_f64 v[74:75], v[15:16], -v[54:55]
	v_add_f64 v[76:77], v[13:14], v[52:53]
	v_add_f64 v[24:25], v[24:25], v[36:37]
	v_add_f64 v[78:79], v[13:14], -v[52:53]
	v_add_f64 v[13:14], v[15:16], v[54:55]
	v_add_f64 v[15:16], v[58:59], v[38:39]
	;; [unrolled: 1-line block ×3, first 2 shown]
	v_add_f64 v[82:83], v[52:53], -v[36:37]
	v_add_f64 v[36:37], v[36:37], -v[52:53]
	;; [unrolled: 1-line block ×4, first 2 shown]
	v_add_f64 v[24:25], v[24:25], v[52:53]
	v_add_f64 v[90:91], v[46:47], v[50:51]
	;; [unrolled: 1-line block ×6, first 2 shown]
	v_add_f64 v[80:81], v[46:47], -v[50:51]
	v_add_f64 v[86:87], v[32:33], -v[44:45]
	;; [unrolled: 1-line block ×5, first 2 shown]
	s_waitcnt lgkmcnt(0)
	v_add_f64 v[94:95], v[34:35], -v[42:43]
	v_add_f64 v[96:97], v[32:33], v[40:41]
	v_add_f64 v[98:99], v[32:33], -v[40:41]
	v_add_f64 v[15:16], v[15:16], v[48:49]
	v_add_f64 v[32:33], v[34:35], v[42:43]
	;; [unrolled: 1-line block ×3, first 2 shown]
	v_fma_f64 v[90:91], v[90:91], -0.5, v[30:31]
	v_fma_f64 v[58:59], v[58:59], -0.5, v[28:29]
	s_mov_b32 s11, 0xbfee6f0e
	s_mov_b32 s5, 0x3fee6f0e
	;; [unrolled: 1-line block ×3, first 2 shown]
	v_add_f64 v[44:45], v[44:45], -v[48:49]
	v_add_f64 v[54:55], v[40:41], -v[48:49]
	;; [unrolled: 1-line block ×5, first 2 shown]
	v_add_f64 v[40:41], v[15:16], v[40:41]
	v_add_f64 v[34:35], v[34:35], v[42:43]
	v_fma_f64 v[15:16], v[98:99], s[4:5], v[90:91]
	v_fma_f64 v[42:43], v[56:57], -0.5, v[17:18]
	v_fma_f64 v[56:57], v[94:95], s[10:11], v[58:59]
	s_mov_b32 s12, 0x4755a5e
	s_mov_b32 s13, 0xbfe2cf23
	;; [unrolled: 1-line block ×4, first 2 shown]
	v_add_f64 v[92:93], v[92:93], v[100:101]
	v_fma_f64 v[15:16], v[44:45], s[6:7], v[15:16]
	v_add_f64 v[54:55], v[86:87], v[54:55]
	v_fma_f64 v[56:57], v[80:81], s[12:13], v[56:57]
	s_mov_b32 s14, 0x372fe950
	s_mov_b32 s15, 0x3fd3c6ef
	v_fma_f64 v[76:77], v[76:77], -0.5, v[17:18]
	v_fma_f64 v[66:67], v[66:67], -0.5, v[19:20]
	;; [unrolled: 1-line block ×3, first 2 shown]
	v_fma_f64 v[15:16], v[92:93], s[14:15], v[15:16]
	v_add_f64 v[62:63], v[62:63], v[82:83]
	v_fma_f64 v[17:18], v[54:55], s[14:15], v[56:57]
	v_fma_f64 v[56:57], v[32:33], -0.5, v[30:31]
	s_mov_b32 s20, 0x9b97f4a8
	s_mov_b32 s21, 0x3fe9e377
	v_fma_f64 v[28:29], v[78:79], s[4:5], v[66:67]
	v_fma_f64 v[86:87], v[13:14], -0.5, v[19:20]
	v_mul_f64 v[30:31], v[15:16], s[12:13]
	v_fma_f64 v[19:20], v[74:75], s[10:11], v[42:43]
	v_add_f64 v[70:71], v[70:71], v[84:85]
	v_fma_f64 v[82:83], v[44:45], s[10:11], v[56:57]
	v_mul_f64 v[32:33], v[17:18], s[6:7]
	v_add_f64 v[46:47], v[46:47], v[50:51]
	v_fma_f64 v[28:29], v[68:69], s[6:7], v[28:29]
	v_add_f64 v[13:14], v[24:25], v[40:41]
	v_fma_f64 v[84:85], v[17:18], s[20:21], v[30:31]
	v_fma_f64 v[17:18], v[80:81], s[4:5], v[96:97]
	;; [unrolled: 1-line block ×5, first 2 shown]
	v_add_f64 v[48:49], v[88:89], v[48:49]
	v_fma_f64 v[82:83], v[70:71], s[14:15], v[28:29]
	v_add_f64 v[15:16], v[52:53], v[34:35]
	v_add_f64 v[72:73], v[72:73], v[38:39]
	v_fma_f64 v[88:89], v[94:95], s[12:13], v[17:18]
	v_add_f64 v[17:18], v[24:25], -v[40:41]
	v_fma_f64 v[24:25], v[46:47], s[14:15], v[30:31]
	v_fma_f64 v[32:33], v[62:63], s[14:15], v[19:20]
	v_add_f64 v[19:20], v[52:53], -v[34:35]
	v_add_f64 v[30:31], v[82:83], v[50:51]
	v_add_f64 v[34:35], v[82:83], -v[50:51]
	v_fma_f64 v[50:51], v[44:45], s[4:5], v[56:57]
	v_fma_f64 v[40:41], v[48:49], s[14:15], v[88:89]
	;; [unrolled: 1-line block ×3, first 2 shown]
	v_mul_f64 v[52:53], v[24:25], s[10:11]
	v_mul_f64 v[24:25], v[24:25], s[14:15]
	v_add_f64 v[64:65], v[64:65], v[36:37]
	v_fma_f64 v[36:37], v[60:61], s[4:5], v[76:77]
	v_fma_f64 v[82:83], v[68:69], s[10:11], v[86:87]
	;; [unrolled: 1-line block ×17, first 2 shown]
	s_mov_b32 s17, 0xbfd3c6ef
	s_mov_b32 s16, s14
	v_fma_f64 v[58:59], v[74:75], s[6:7], v[76:77]
	v_fma_f64 v[74:75], v[78:79], s[12:13], v[38:39]
	;; [unrolled: 1-line block ×3, first 2 shown]
	v_mul_f64 v[60:61], v[46:47], s[10:11]
	v_fma_f64 v[52:53], v[80:81], s[6:7], v[52:53]
	v_fma_f64 v[40:41], v[92:93], s[14:15], v[40:41]
	v_mul_f64 v[46:47], v[46:47], s[16:17]
	s_mov_b32 s19, 0xbfe9e377
	s_mov_b32 s18, s20
	v_fma_f64 v[66:67], v[68:69], s[12:13], v[66:67]
	v_fma_f64 v[44:45], v[64:65], s[14:15], v[36:37]
	;; [unrolled: 1-line block ×4, first 2 shown]
	v_mul_f64 v[54:55], v[40:41], s[12:13]
	v_mul_f64 v[40:41], v[40:41], s[18:19]
	v_fma_f64 v[58:59], v[64:65], s[14:15], v[58:59]
	v_fma_f64 v[64:65], v[72:73], s[14:15], v[74:75]
	;; [unrolled: 1-line block ×8, first 2 shown]
	v_add_f64 v[28:29], v[32:33], v[84:85]
	v_add_f64 v[36:37], v[44:45], v[50:51]
	;; [unrolled: 1-line block ×3, first 2 shown]
	v_add_f64 v[40:41], v[44:45], -v[50:51]
	v_add_f64 v[44:45], v[58:59], v[60:61]
	v_add_f64 v[46:47], v[64:65], v[68:69]
	v_add_f64 v[52:53], v[62:63], v[70:71]
	v_add_f64 v[54:55], v[66:67], v[72:73]
	v_add_f64 v[32:33], v[32:33], -v[84:85]
	s_movk_i32 s0, 0x90
	v_add_f64 v[42:43], v[56:57], -v[24:25]
	v_mad_u32_u24 v21, v8, s0, v23
	v_add_f64 v[48:49], v[58:59], -v[60:61]
	v_add_f64 v[50:51], v[64:65], -v[68:69]
	;; [unrolled: 1-line block ×4, first 2 shown]
	s_waitcnt lgkmcnt(0)
	; wave barrier
	ds_write_b128 v21, v[13:16]
	ds_write_b128 v21, v[28:31] offset:16
	ds_write_b128 v21, v[36:39] offset:32
	ds_write_b128 v21, v[44:47] offset:48
	ds_write_b128 v21, v[52:55] offset:64
	ds_write_b128 v21, v[17:20] offset:80
	ds_write_b128 v21, v[32:35] offset:96
	ds_write_b128 v21, v[40:43] offset:112
	ds_write_b128 v21, v[48:51] offset:128
	ds_write_b128 v21, v[56:59] offset:144
	v_add_u32_e32 v13, -10, v8
	v_cmp_gt_u32_e64 s[0:1], 10, v8
	v_cndmask_b32_e64 v14, v13, v8, s[0:1]
	v_mul_i32_i24_e32 v15, 9, v14
	v_mov_b32_e32 v16, 0
	v_lshlrev_b64 v[15:16], 4, v[15:16]
	v_mov_b32_e32 v13, s9
	v_add_co_u32_e64 v19, s[0:1], s8, v15
	v_addc_co_u32_e64 v20, s[0:1], v13, v16, s[0:1]
	s_waitcnt lgkmcnt(0)
	; wave barrier
	s_waitcnt lgkmcnt(0)
	global_load_dwordx4 v[15:18], v[19:20], off
	global_load_dwordx4 v[32:35], v[19:20], off offset:16
	global_load_dwordx4 v[36:39], v[19:20], off offset:32
	;; [unrolled: 1-line block ×8, first 2 shown]
	v_lshl_add_u32 v31, v6, 4, v27
	ds_read_b128 v[64:67], v31
	v_lshl_add_u32 v30, v2, 4, v27
	v_lshl_add_u32 v29, v0, 4, v27
	ds_read_b128 v[68:71], v30
	ds_read_b128 v[72:75], v23 offset:1600
	v_lshl_add_u32 v28, v4, 4, v27
	v_cmp_lt_u32_e64 s[0:1], 9, v8
	v_lshlrev_b32_e32 v14, 4, v14
	v_lshlrev_b64 v[6:7], 4, v[6:7]
	v_lshlrev_b64 v[2:3], 4, v[2:3]
	;; [unrolled: 1-line block ×3, first 2 shown]
	s_waitcnt vmcnt(8) lgkmcnt(2)
	v_mul_f64 v[19:20], v[66:67], v[17:18]
	v_mul_f64 v[24:25], v[64:65], v[17:18]
	v_fma_f64 v[80:81], v[64:65], v[15:16], v[19:20]
	ds_read_b128 v[17:20], v29
	s_waitcnt vmcnt(7) lgkmcnt(2)
	v_mul_f64 v[76:77], v[70:71], v[34:35]
	v_fma_f64 v[24:25], v[66:67], v[15:16], -v[24:25]
	v_mul_f64 v[15:16], v[68:69], v[34:35]
	ds_read_b128 v[64:67], v28
	s_waitcnt vmcnt(6) lgkmcnt(1)
	v_mul_f64 v[34:35], v[19:20], v[38:39]
	v_mul_f64 v[38:39], v[17:18], v[38:39]
	v_fma_f64 v[68:69], v[68:69], v[32:33], v[76:77]
	ds_read_b128 v[76:79], v26
	v_fma_f64 v[70:71], v[70:71], v[32:33], -v[15:16]
	s_waitcnt vmcnt(5) lgkmcnt(1)
	v_mul_f64 v[82:83], v[66:67], v[42:43]
	v_fma_f64 v[86:87], v[17:18], v[36:37], v[34:35]
	ds_read_b128 v[15:18], v23 offset:1920
	s_waitcnt vmcnt(4)
	v_mul_f64 v[84:85], v[74:75], v[46:47]
	v_mul_f64 v[46:47], v[72:73], v[46:47]
	;; [unrolled: 1-line block ×3, first 2 shown]
	v_fma_f64 v[19:20], v[19:20], v[36:37], -v[38:39]
	ds_read_b128 v[32:35], v23 offset:2560
	ds_read_b128 v[36:39], v23 offset:2240
	v_fma_f64 v[64:65], v[64:65], v[40:41], v[82:83]
	v_fma_f64 v[72:73], v[72:73], v[44:45], v[84:85]
	v_fma_f64 v[44:45], v[74:75], v[44:45], -v[46:47]
	s_waitcnt vmcnt(3) lgkmcnt(2)
	v_mul_f64 v[46:47], v[17:18], v[50:51]
	v_fma_f64 v[66:67], v[66:67], v[40:41], -v[42:43]
	ds_read_b128 v[40:43], v23 offset:2880
	v_mul_f64 v[50:51], v[15:16], v[50:51]
	s_waitcnt vmcnt(2) lgkmcnt(2)
	v_mul_f64 v[74:75], v[34:35], v[54:55]
	v_mul_f64 v[54:55], v[32:33], v[54:55]
	s_waitcnt vmcnt(1) lgkmcnt(1)
	v_mul_f64 v[82:83], v[38:39], v[58:59]
	;; [unrolled: 3-line block ×3, first 2 shown]
	v_fma_f64 v[46:47], v[15:16], v[48:49], v[46:47]
	v_mul_f64 v[62:63], v[40:41], v[62:63]
	v_fma_f64 v[48:49], v[17:18], v[48:49], -v[50:51]
	v_fma_f64 v[50:51], v[32:33], v[52:53], v[74:75]
	v_fma_f64 v[52:53], v[34:35], v[52:53], -v[54:55]
	v_add_f64 v[15:16], v[76:77], v[68:69]
	v_fma_f64 v[32:33], v[38:39], v[56:57], -v[58:59]
	v_fma_f64 v[34:35], v[40:41], v[60:61], v[84:85]
	v_add_f64 v[38:39], v[64:65], v[46:47]
	v_add_f64 v[40:41], v[78:79], v[70:71]
	v_fma_f64 v[17:18], v[36:37], v[56:57], v[82:83]
	v_fma_f64 v[36:37], v[42:43], v[60:61], -v[62:63]
	v_add_f64 v[42:43], v[68:69], v[50:51]
	v_add_f64 v[54:55], v[66:67], v[48:49]
	;; [unrolled: 1-line block ×6, first 2 shown]
	v_fma_f64 v[62:63], v[38:39], -0.5, v[76:77]
	v_add_f64 v[38:39], v[40:41], v[66:67]
	v_add_f64 v[40:41], v[44:45], v[32:33]
	v_fma_f64 v[42:43], v[42:43], -0.5, v[76:77]
	v_fma_f64 v[54:55], v[54:55], -0.5, v[78:79]
	v_add_f64 v[58:59], v[58:59], v[72:73]
	v_add_f64 v[60:61], v[60:61], v[44:45]
	;; [unrolled: 1-line block ×3, first 2 shown]
	v_fma_f64 v[56:57], v[56:57], -0.5, v[78:79]
	v_add_f64 v[74:75], v[72:73], v[17:18]
	v_fma_f64 v[76:77], v[40:41], -0.5, v[24:25]
	v_add_f64 v[78:79], v[86:87], -v[34:35]
	v_add_f64 v[82:83], v[36:37], -v[32:33]
	v_add_f64 v[40:41], v[58:59], v[17:18]
	v_add_f64 v[58:59], v[60:61], v[32:33]
	;; [unrolled: 1-line block ×3, first 2 shown]
	v_add_f64 v[15:16], v[19:20], -v[44:45]
	v_fma_f64 v[74:75], v[74:75], -0.5, v[80:81]
	v_add_f64 v[84:85], v[19:20], -v[36:37]
	v_fma_f64 v[88:89], v[78:79], s[4:5], v[76:77]
	v_add_f64 v[90:91], v[72:73], -v[17:18]
	v_add_f64 v[98:99], v[68:69], -v[64:65]
	v_add_f64 v[100:101], v[50:51], -v[46:47]
	v_add_f64 v[92:93], v[86:87], -v[72:73]
	v_add_f64 v[94:95], v[34:35], -v[17:18]
	v_add_f64 v[82:83], v[15:16], v[82:83]
	v_fma_f64 v[15:16], v[84:85], s[10:11], v[74:75]
	v_add_f64 v[96:97], v[44:45], -v[32:33]
	v_fma_f64 v[88:89], v[90:91], s[6:7], v[88:89]
	v_add_f64 v[102:103], v[70:71], -v[66:67]
	v_add_f64 v[98:99], v[98:99], v[100:101]
	v_add_f64 v[100:101], v[19:20], v[36:37]
	v_add_f64 v[104:105], v[52:53], -v[48:49]
	v_add_f64 v[92:93], v[92:93], v[94:95]
	v_add_f64 v[114:115], v[86:87], v[34:35]
	v_fma_f64 v[94:95], v[96:97], s[12:13], v[15:16]
	v_fma_f64 v[88:89], v[82:83], s[14:15], v[88:89]
	v_add_f64 v[38:39], v[38:39], v[48:49]
	v_add_f64 v[58:59], v[58:59], v[36:37]
	v_fma_f64 v[24:25], v[100:101], -0.5, v[24:25]
	v_add_f64 v[102:103], v[102:103], v[104:105]
	v_add_f64 v[19:20], v[44:45], -v[19:20]
	v_add_f64 v[32:33], v[32:33], -v[36:37]
	v_fma_f64 v[94:95], v[92:93], s[14:15], v[94:95]
	v_mul_f64 v[104:105], v[88:89], s[12:13]
	v_mul_f64 v[88:89], v[88:89], s[20:21]
	v_fma_f64 v[44:45], v[114:115], -0.5, v[80:81]
	v_fma_f64 v[36:37], v[90:91], s[10:11], v[24:25]
	v_add_f64 v[38:39], v[38:39], v[52:53]
	v_add_f64 v[40:41], v[40:41], v[34:35]
	v_add_f64 v[72:73], v[72:73], -v[86:87]
	v_add_f64 v[86:87], v[17:18], -v[34:35]
	v_fma_f64 v[104:105], v[94:95], s[20:21], v[104:105]
	v_fma_f64 v[88:89], v[94:95], s[6:7], v[88:89]
	v_add_f64 v[19:20], v[19:20], v[32:33]
	v_fma_f64 v[94:95], v[96:97], s[4:5], v[44:45]
	v_fma_f64 v[36:37], v[78:79], s[6:7], v[36:37]
	v_add_f64 v[15:16], v[60:61], v[40:41]
	v_add_f64 v[112:113], v[66:67], -v[48:49]
	v_add_f64 v[17:18], v[38:39], v[58:59]
	v_add_f64 v[32:33], v[60:61], -v[40:41]
	v_add_f64 v[34:35], v[38:39], -v[58:59]
	v_add_f64 v[58:59], v[72:73], v[86:87]
	v_fma_f64 v[40:41], v[84:85], s[12:13], v[94:95]
	v_fma_f64 v[60:61], v[19:20], s[14:15], v[36:37]
	v_add_f64 v[106:107], v[70:71], -v[52:53]
	v_add_f64 v[108:109], v[68:69], -v[50:51]
	v_add_f64 v[116:117], v[64:65], -v[46:47]
	v_add_f64 v[64:65], v[64:65], -v[68:69]
	v_add_f64 v[46:47], v[46:47], -v[50:51]
	v_add_f64 v[50:51], v[66:67], -v[70:71]
	v_add_f64 v[48:49], v[48:49], -v[52:53]
	v_fma_f64 v[52:53], v[58:59], s[14:15], v[40:41]
	v_mul_f64 v[66:67], v[60:61], s[10:11]
	v_fma_f64 v[68:69], v[112:113], s[4:5], v[42:43]
	v_fma_f64 v[70:71], v[112:113], s[10:11], v[42:43]
	v_mul_f64 v[60:61], v[60:61], s[14:15]
	v_fma_f64 v[24:25], v[90:91], s[4:5], v[24:25]
	v_add_f64 v[46:47], v[64:65], v[46:47]
	v_add_f64 v[48:49], v[50:51], v[48:49]
	v_fma_f64 v[44:45], v[96:97], s[10:11], v[44:45]
	v_fma_f64 v[50:51], v[52:53], s[14:15], v[66:67]
	;; [unrolled: 1-line block ×28, first 2 shown]
	v_mul_f64 v[56:57], v[19:20], s[10:11]
	v_mul_f64 v[19:20], v[19:20], s[16:17]
	v_fma_f64 v[24:25], v[112:113], s[6:7], v[24:25]
	v_fma_f64 v[54:55], v[116:117], s[12:13], v[54:55]
	;; [unrolled: 1-line block ×3, first 2 shown]
	v_mul_f64 v[70:71], v[60:61], s[12:13]
	v_mul_f64 v[60:61], v[60:61], s[18:19]
	v_fma_f64 v[80:81], v[98:99], s[14:15], v[80:81]
	v_fma_f64 v[100:101], v[102:103], s[14:15], v[100:101]
	;; [unrolled: 1-line block ×8, first 2 shown]
	v_add_f64 v[36:37], v[80:81], v[104:105]
	v_add_f64 v[38:39], v[100:101], v[88:89]
	;; [unrolled: 1-line block ×4, first 2 shown]
	v_add_f64 v[48:49], v[64:65], -v[50:51]
	v_add_f64 v[50:51], v[62:63], -v[52:53]
	v_add_f64 v[52:53], v[66:67], v[56:57]
	v_add_f64 v[54:55], v[68:69], v[19:20]
	v_add_f64 v[58:59], v[68:69], -v[19:20]
	v_add_f64 v[60:61], v[24:25], v[70:71]
	v_add_f64 v[62:63], v[72:73], v[74:75]
	v_mov_b32_e32 v19, 0x640
	v_cndmask_b32_e64 v19, 0, v19, s[0:1]
	v_add_f64 v[40:41], v[80:81], -v[104:105]
	v_add_f64 v[42:43], v[100:101], -v[88:89]
	v_add_u32_e32 v19, 0, v19
	v_add3_u32 v12, v19, v14, v12
	v_add_f64 v[56:57], v[66:67], -v[56:57]
	v_add_f64 v[64:65], v[24:25], -v[70:71]
	;; [unrolled: 1-line block ×3, first 2 shown]
	s_waitcnt lgkmcnt(0)
	; wave barrier
	ds_write_b128 v12, v[15:18]
	ds_write_b128 v12, v[36:39] offset:160
	ds_write_b128 v12, v[44:47] offset:320
	;; [unrolled: 1-line block ×9, first 2 shown]
	v_lshlrev_b64 v[14:15], 4, v[8:9]
	s_waitcnt lgkmcnt(0)
	v_add_co_u32_e64 v20, s[0:1], s8, v14
	v_addc_co_u32_e64 v21, s[0:1], v13, v15, s[0:1]
	; wave barrier
	global_load_dwordx4 v[32:35], v[20:21], off offset:1440
	v_add_co_u32_e64 v16, s[0:1], s8, v6
	v_addc_co_u32_e64 v17, s[0:1], v13, v7, s[0:1]
	global_load_dwordx4 v[36:39], v[16:17], off offset:1440
	v_add_co_u32_e64 v18, s[0:1], s8, v2
	v_addc_co_u32_e64 v19, s[0:1], v13, v3, s[0:1]
	v_lshlrev_b64 v[6:7], 4, v[0:1]
	global_load_dwordx4 v[0:3], v[18:19], off offset:1440
	v_add_co_u32_e64 v14, s[0:1], s8, v6
	v_addc_co_u32_e64 v15, s[0:1], v13, v7, s[0:1]
	global_load_dwordx4 v[40:43], v[14:15], off offset:1440
	v_add_co_u32_e64 v12, s[0:1], s8, v4
	v_addc_co_u32_e64 v13, s[0:1], v13, v5, s[0:1]
	global_load_dwordx4 v[4:7], v[12:13], off offset:1440
	ds_read_b128 v[44:47], v23 offset:1600
	ds_read_b128 v[48:51], v23 offset:1920
	;; [unrolled: 1-line block ×3, first 2 shown]
	v_sub_u32_e32 v9, v27, v22
	v_cmp_ne_u32_e64 s[0:1], 0, v8
	s_waitcnt vmcnt(4) lgkmcnt(2)
	v_mul_f64 v[24:25], v[46:47], v[34:35]
	v_mul_f64 v[34:35], v[44:45], v[34:35]
	s_waitcnt vmcnt(3) lgkmcnt(1)
	v_mul_f64 v[56:57], v[50:51], v[38:39]
	v_mul_f64 v[38:39], v[48:49], v[38:39]
	v_fma_f64 v[24:25], v[44:45], v[32:33], v[24:25]
	v_fma_f64 v[58:59], v[46:47], v[32:33], -v[34:35]
	ds_read_b128 v[32:35], v23 offset:2560
	s_waitcnt vmcnt(2) lgkmcnt(1)
	v_mul_f64 v[64:65], v[54:55], v[2:3]
	v_mul_f64 v[2:3], v[52:53], v[2:3]
	v_fma_f64 v[60:61], v[48:49], v[36:37], v[56:57]
	v_fma_f64 v[62:63], v[50:51], v[36:37], -v[38:39]
	ds_read_b128 v[36:39], v26
	ds_read_b128 v[44:47], v23 offset:2880
	s_waitcnt vmcnt(1) lgkmcnt(2)
	v_mul_f64 v[66:67], v[34:35], v[42:43]
	v_mul_f64 v[42:43], v[32:33], v[42:43]
	v_fma_f64 v[52:53], v[52:53], v[0:1], v[64:65]
	s_waitcnt lgkmcnt(1)
	v_add_f64 v[48:49], v[36:37], -v[24:25]
	v_add_f64 v[50:51], v[38:39], -v[58:59]
	s_waitcnt vmcnt(0) lgkmcnt(0)
	v_mul_f64 v[24:25], v[46:47], v[6:7]
	v_mul_f64 v[6:7], v[44:45], v[6:7]
	v_fma_f64 v[54:55], v[54:55], v[0:1], -v[2:3]
	ds_read_b128 v[56:59], v31
	v_fma_f64 v[64:65], v[32:33], v[40:41], v[66:67]
	v_fma_f64 v[66:67], v[34:35], v[40:41], -v[42:43]
	v_fma_f64 v[0:1], v[36:37], 2.0, -v[48:49]
	v_fma_f64 v[2:3], v[38:39], 2.0, -v[50:51]
	v_fma_f64 v[24:25], v[44:45], v[4:5], v[24:25]
	v_fma_f64 v[68:69], v[46:47], v[4:5], -v[6:7]
	ds_read_b128 v[4:7], v30
	ds_read_b128 v[32:35], v29
	ds_read_b128 v[36:39], v28
	s_waitcnt lgkmcnt(0)
	; wave barrier
	s_waitcnt lgkmcnt(0)
	v_add_f64 v[40:41], v[4:5], -v[52:53]
	v_add_f64 v[42:43], v[6:7], -v[54:55]
	ds_write_b128 v23, v[0:3]
	v_add_f64 v[0:1], v[56:57], -v[60:61]
	v_add_f64 v[2:3], v[58:59], -v[62:63]
	;; [unrolled: 1-line block ×6, first 2 shown]
	v_fma_f64 v[4:5], v[4:5], 2.0, -v[40:41]
	v_fma_f64 v[6:7], v[6:7], 2.0, -v[42:43]
	;; [unrolled: 1-line block ×8, first 2 shown]
	ds_write_b128 v23, v[48:51] offset:1600
	ds_write_b128 v31, v[56:59]
	ds_write_b128 v31, v[0:3] offset:1600
	ds_write_b128 v30, v[4:7]
	;; [unrolled: 2-line block ×4, first 2 shown]
	ds_write_b128 v28, v[52:55] offset:1600
	s_waitcnt lgkmcnt(0)
	; wave barrier
	s_waitcnt lgkmcnt(0)
	ds_read_b128 v[4:7], v26
                                        ; implicit-def: $vgpr22_vgpr23
                                        ; implicit-def: $vgpr24_vgpr25
                                        ; implicit-def: $vgpr0_vgpr1
	s_and_saveexec_b64 s[4:5], s[0:1]
	s_xor_b64 s[0:1], exec, s[4:5]
	s_cbranch_execz .LBB0_14
; %bb.13:
	global_load_dwordx4 v[20:23], v[20:21], off offset:3040
	ds_read_b128 v[0:3], v9 offset:3200
                                        ; implicit-def: $vgpr27
	s_waitcnt lgkmcnt(0)
	v_add_f64 v[24:25], v[4:5], -v[0:1]
	v_add_f64 v[32:33], v[6:7], v[2:3]
	v_add_f64 v[2:3], v[6:7], -v[2:3]
	v_add_f64 v[0:1], v[4:5], v[0:1]
	v_mul_f64 v[6:7], v[24:25], 0.5
	v_mul_f64 v[4:5], v[32:33], 0.5
	;; [unrolled: 1-line block ×3, first 2 shown]
	s_waitcnt vmcnt(0)
	v_mul_f64 v[24:25], v[6:7], v[22:23]
	v_fma_f64 v[32:33], v[4:5], v[22:23], v[2:3]
	v_fma_f64 v[2:3], v[4:5], v[22:23], -v[2:3]
	v_fma_f64 v[34:35], v[0:1], 0.5, v[24:25]
	v_fma_f64 v[0:1], v[0:1], 0.5, -v[24:25]
	v_fma_f64 v[24:25], -v[20:21], v[6:7], v[32:33]
	v_fma_f64 v[2:3], -v[20:21], v[6:7], v[2:3]
	v_fma_f64 v[22:23], v[4:5], v[20:21], v[34:35]
	v_fma_f64 v[0:1], -v[4:5], v[20:21], v[0:1]
                                        ; implicit-def: $vgpr4_vgpr5
.LBB0_14:
	s_andn2_saveexec_b64 s[0:1], s[0:1]
	s_cbranch_execz .LBB0_16
; %bb.15:
	s_waitcnt lgkmcnt(0)
	v_add_f64 v[22:23], v[4:5], v[6:7]
	ds_read_b64 v[2:3], v27 offset:1608
	v_add_f64 v[0:1], v[4:5], -v[6:7]
	v_mov_b32_e32 v24, 0
	v_mov_b32_e32 v25, 0
	s_waitcnt lgkmcnt(0)
	v_xor_b32_e32 v3, 0x80000000, v3
	ds_write_b64 v27, v[2:3] offset:1608
	v_mov_b32_e32 v2, v24
	v_mov_b32_e32 v3, v25
.LBB0_16:
	s_or_b64 exec, exec, s[0:1]
	s_waitcnt lgkmcnt(0)
	global_load_dwordx4 v[4:7], v[16:17], off offset:3040
	global_load_dwordx4 v[32:35], v[18:19], off offset:3040
	ds_write2_b64 v26, v[22:23], v[24:25] offset1:1
	ds_write_b128 v9, v[0:3] offset:3200
	ds_read_b128 v[0:3], v31
	ds_read_b128 v[16:19], v9 offset:2880
	s_waitcnt lgkmcnt(0)
	v_add_f64 v[20:21], v[0:1], -v[16:17]
	v_add_f64 v[22:23], v[2:3], v[18:19]
	v_add_f64 v[2:3], v[2:3], -v[18:19]
	v_add_f64 v[0:1], v[0:1], v[16:17]
	v_mul_f64 v[18:19], v[20:21], 0.5
	v_mul_f64 v[20:21], v[22:23], 0.5
	;; [unrolled: 1-line block ×3, first 2 shown]
	s_waitcnt vmcnt(1)
	v_mul_f64 v[16:17], v[18:19], v[6:7]
	v_fma_f64 v[22:23], v[20:21], v[6:7], v[2:3]
	v_fma_f64 v[6:7], v[20:21], v[6:7], -v[2:3]
	v_fma_f64 v[24:25], v[0:1], 0.5, v[16:17]
	v_fma_f64 v[16:17], v[0:1], 0.5, -v[16:17]
	global_load_dwordx4 v[0:3], v[14:15], off offset:3040
	v_fma_f64 v[14:15], -v[4:5], v[18:19], v[22:23]
	v_fma_f64 v[6:7], -v[4:5], v[18:19], v[6:7]
	v_fma_f64 v[18:19], v[20:21], v[4:5], v[24:25]
	v_fma_f64 v[4:5], -v[20:21], v[4:5], v[16:17]
	ds_write2_b64 v31, v[18:19], v[14:15] offset1:1
	ds_write_b128 v9, v[4:7] offset:2880
	ds_read_b128 v[4:7], v30
	ds_read_b128 v[14:17], v9 offset:2560
	s_waitcnt lgkmcnt(0)
	v_add_f64 v[18:19], v[4:5], -v[14:15]
	v_add_f64 v[20:21], v[6:7], v[16:17]
	v_add_f64 v[6:7], v[6:7], -v[16:17]
	v_add_f64 v[4:5], v[4:5], v[14:15]
	v_mul_f64 v[16:17], v[18:19], 0.5
	v_mul_f64 v[18:19], v[20:21], 0.5
	;; [unrolled: 1-line block ×3, first 2 shown]
	s_waitcnt vmcnt(1)
	v_mul_f64 v[14:15], v[16:17], v[34:35]
	v_fma_f64 v[20:21], v[18:19], v[34:35], v[6:7]
	v_fma_f64 v[22:23], v[18:19], v[34:35], -v[6:7]
	v_fma_f64 v[24:25], v[4:5], 0.5, v[14:15]
	v_fma_f64 v[34:35], v[4:5], 0.5, -v[14:15]
	global_load_dwordx4 v[4:7], v[12:13], off offset:3040
	v_fma_f64 v[20:21], -v[32:33], v[16:17], v[20:21]
	v_fma_f64 v[14:15], -v[32:33], v[16:17], v[22:23]
	v_fma_f64 v[16:17], v[18:19], v[32:33], v[24:25]
	v_fma_f64 v[12:13], -v[18:19], v[32:33], v[34:35]
	ds_write2_b64 v30, v[16:17], v[20:21] offset1:1
	ds_write_b128 v9, v[12:15] offset:2560
	ds_read_b128 v[12:15], v29
	ds_read_b128 v[16:19], v9 offset:2240
	s_waitcnt lgkmcnt(0)
	v_add_f64 v[20:21], v[12:13], -v[16:17]
	v_add_f64 v[22:23], v[14:15], v[18:19]
	v_add_f64 v[14:15], v[14:15], -v[18:19]
	v_add_f64 v[12:13], v[12:13], v[16:17]
	v_mul_f64 v[18:19], v[20:21], 0.5
	v_mul_f64 v[20:21], v[22:23], 0.5
	;; [unrolled: 1-line block ×3, first 2 shown]
	s_waitcnt vmcnt(1)
	v_mul_f64 v[16:17], v[18:19], v[2:3]
	v_fma_f64 v[22:23], v[20:21], v[2:3], v[14:15]
	v_fma_f64 v[2:3], v[20:21], v[2:3], -v[14:15]
	v_fma_f64 v[14:15], v[12:13], 0.5, v[16:17]
	v_fma_f64 v[12:13], v[12:13], 0.5, -v[16:17]
	v_fma_f64 v[16:17], -v[0:1], v[18:19], v[22:23]
	v_fma_f64 v[2:3], -v[0:1], v[18:19], v[2:3]
	v_fma_f64 v[14:15], v[20:21], v[0:1], v[14:15]
	v_fma_f64 v[0:1], -v[20:21], v[0:1], v[12:13]
	ds_write2_b64 v29, v[14:15], v[16:17] offset1:1
	ds_write_b128 v9, v[0:3] offset:2240
	ds_read_b128 v[0:3], v28
	ds_read_b128 v[12:15], v9 offset:1920
	s_waitcnt lgkmcnt(0)
	v_add_f64 v[16:17], v[0:1], -v[12:13]
	v_add_f64 v[18:19], v[2:3], v[14:15]
	v_add_f64 v[2:3], v[2:3], -v[14:15]
	v_add_f64 v[0:1], v[0:1], v[12:13]
	v_mul_f64 v[14:15], v[16:17], 0.5
	v_mul_f64 v[16:17], v[18:19], 0.5
	;; [unrolled: 1-line block ×3, first 2 shown]
	s_waitcnt vmcnt(0)
	v_mul_f64 v[12:13], v[14:15], v[6:7]
	v_fma_f64 v[18:19], v[16:17], v[6:7], v[2:3]
	v_fma_f64 v[2:3], v[16:17], v[6:7], -v[2:3]
	v_fma_f64 v[6:7], v[0:1], 0.5, v[12:13]
	v_fma_f64 v[0:1], v[0:1], 0.5, -v[12:13]
	v_fma_f64 v[12:13], -v[4:5], v[14:15], v[18:19]
	v_fma_f64 v[2:3], -v[4:5], v[14:15], v[2:3]
	v_fma_f64 v[6:7], v[16:17], v[4:5], v[6:7]
	v_fma_f64 v[0:1], -v[16:17], v[4:5], v[0:1]
	ds_write2_b64 v28, v[6:7], v[12:13] offset1:1
	ds_write_b128 v9, v[0:3] offset:1920
	s_waitcnt lgkmcnt(0)
	; wave barrier
	s_waitcnt lgkmcnt(0)
	s_and_saveexec_b64 s[0:1], vcc
	s_cbranch_execz .LBB0_19
; %bb.17:
	v_mov_b32_e32 v9, 0
	ds_read_b128 v[2:5], v26
	v_mov_b32_e32 v1, s3
	v_add_co_u32_e32 v0, vcc, s2, v10
	v_lshlrev_b64 v[6:7], 4, v[8:9]
	v_addc_co_u32_e32 v1, vcc, v1, v11, vcc
	v_add_co_u32_e32 v6, vcc, v0, v6
	v_addc_co_u32_e32 v7, vcc, v1, v7, vcc
	ds_read_b128 v[9:12], v26 offset:320
	ds_read_b128 v[13:16], v26 offset:640
	;; [unrolled: 1-line block ×3, first 2 shown]
	s_waitcnt lgkmcnt(3)
	global_store_dwordx4 v[6:7], v[2:5], off
	ds_read_b128 v[2:5], v26 offset:1280
	s_waitcnt lgkmcnt(3)
	global_store_dwordx4 v[6:7], v[9:12], off offset:320
	s_waitcnt lgkmcnt(2)
	global_store_dwordx4 v[6:7], v[13:16], off offset:640
	;; [unrolled: 2-line block ×3, first 2 shown]
	ds_read_b128 v[9:12], v26 offset:1600
	s_waitcnt lgkmcnt(1)
	global_store_dwordx4 v[6:7], v[2:5], off offset:1280
	ds_read_b128 v[2:5], v26 offset:1920
	ds_read_b128 v[13:16], v26 offset:2240
	;; [unrolled: 1-line block ×4, first 2 shown]
	v_cmp_eq_u32_e32 vcc, 19, v8
	s_waitcnt lgkmcnt(4)
	global_store_dwordx4 v[6:7], v[9:12], off offset:1600
	s_waitcnt lgkmcnt(3)
	global_store_dwordx4 v[6:7], v[2:5], off offset:1920
	;; [unrolled: 2-line block ×5, first 2 shown]
	s_and_b64 exec, exec, vcc
	s_cbranch_execz .LBB0_19
; %bb.18:
	ds_read_b128 v[2:5], v26 offset:2896
	s_waitcnt lgkmcnt(0)
	global_store_dwordx4 v[0:1], v[2:5], off offset:3200
.LBB0_19:
	s_endpgm
	.section	.rodata,"a",@progbits
	.p2align	6, 0x0
	.amdhsa_kernel fft_rtc_back_len200_factors_10_10_2_wgs_60_tpt_20_halfLds_dp_ip_CI_unitstride_sbrr_R2C_dirReg
		.amdhsa_group_segment_fixed_size 0
		.amdhsa_private_segment_fixed_size 0
		.amdhsa_kernarg_size 88
		.amdhsa_user_sgpr_count 6
		.amdhsa_user_sgpr_private_segment_buffer 1
		.amdhsa_user_sgpr_dispatch_ptr 0
		.amdhsa_user_sgpr_queue_ptr 0
		.amdhsa_user_sgpr_kernarg_segment_ptr 1
		.amdhsa_user_sgpr_dispatch_id 0
		.amdhsa_user_sgpr_flat_scratch_init 0
		.amdhsa_user_sgpr_private_segment_size 0
		.amdhsa_uses_dynamic_stack 0
		.amdhsa_system_sgpr_private_segment_wavefront_offset 0
		.amdhsa_system_sgpr_workgroup_id_x 1
		.amdhsa_system_sgpr_workgroup_id_y 0
		.amdhsa_system_sgpr_workgroup_id_z 0
		.amdhsa_system_sgpr_workgroup_info 0
		.amdhsa_system_vgpr_workitem_id 0
		.amdhsa_next_free_vgpr 118
		.amdhsa_next_free_sgpr 22
		.amdhsa_reserve_vcc 1
		.amdhsa_reserve_flat_scratch 0
		.amdhsa_float_round_mode_32 0
		.amdhsa_float_round_mode_16_64 0
		.amdhsa_float_denorm_mode_32 3
		.amdhsa_float_denorm_mode_16_64 3
		.amdhsa_dx10_clamp 1
		.amdhsa_ieee_mode 1
		.amdhsa_fp16_overflow 0
		.amdhsa_exception_fp_ieee_invalid_op 0
		.amdhsa_exception_fp_denorm_src 0
		.amdhsa_exception_fp_ieee_div_zero 0
		.amdhsa_exception_fp_ieee_overflow 0
		.amdhsa_exception_fp_ieee_underflow 0
		.amdhsa_exception_fp_ieee_inexact 0
		.amdhsa_exception_int_div_zero 0
	.end_amdhsa_kernel
	.text
.Lfunc_end0:
	.size	fft_rtc_back_len200_factors_10_10_2_wgs_60_tpt_20_halfLds_dp_ip_CI_unitstride_sbrr_R2C_dirReg, .Lfunc_end0-fft_rtc_back_len200_factors_10_10_2_wgs_60_tpt_20_halfLds_dp_ip_CI_unitstride_sbrr_R2C_dirReg
                                        ; -- End function
	.section	.AMDGPU.csdata,"",@progbits
; Kernel info:
; codeLenInByte = 6884
; NumSgprs: 26
; NumVgprs: 118
; ScratchSize: 0
; MemoryBound: 0
; FloatMode: 240
; IeeeMode: 1
; LDSByteSize: 0 bytes/workgroup (compile time only)
; SGPRBlocks: 3
; VGPRBlocks: 29
; NumSGPRsForWavesPerEU: 26
; NumVGPRsForWavesPerEU: 118
; Occupancy: 2
; WaveLimiterHint : 1
; COMPUTE_PGM_RSRC2:SCRATCH_EN: 0
; COMPUTE_PGM_RSRC2:USER_SGPR: 6
; COMPUTE_PGM_RSRC2:TRAP_HANDLER: 0
; COMPUTE_PGM_RSRC2:TGID_X_EN: 1
; COMPUTE_PGM_RSRC2:TGID_Y_EN: 0
; COMPUTE_PGM_RSRC2:TGID_Z_EN: 0
; COMPUTE_PGM_RSRC2:TIDIG_COMP_CNT: 0
	.type	__hip_cuid_b49965f13f0563b7,@object ; @__hip_cuid_b49965f13f0563b7
	.section	.bss,"aw",@nobits
	.globl	__hip_cuid_b49965f13f0563b7
__hip_cuid_b49965f13f0563b7:
	.byte	0                               ; 0x0
	.size	__hip_cuid_b49965f13f0563b7, 1

	.ident	"AMD clang version 19.0.0git (https://github.com/RadeonOpenCompute/llvm-project roc-6.4.0 25133 c7fe45cf4b819c5991fe208aaa96edf142730f1d)"
	.section	".note.GNU-stack","",@progbits
	.addrsig
	.addrsig_sym __hip_cuid_b49965f13f0563b7
	.amdgpu_metadata
---
amdhsa.kernels:
  - .args:
      - .actual_access:  read_only
        .address_space:  global
        .offset:         0
        .size:           8
        .value_kind:     global_buffer
      - .offset:         8
        .size:           8
        .value_kind:     by_value
      - .actual_access:  read_only
        .address_space:  global
        .offset:         16
        .size:           8
        .value_kind:     global_buffer
      - .actual_access:  read_only
        .address_space:  global
        .offset:         24
        .size:           8
        .value_kind:     global_buffer
      - .offset:         32
        .size:           8
        .value_kind:     by_value
      - .actual_access:  read_only
        .address_space:  global
        .offset:         40
        .size:           8
        .value_kind:     global_buffer
      - .actual_access:  read_only
        .address_space:  global
        .offset:         48
        .size:           8
        .value_kind:     global_buffer
      - .offset:         56
        .size:           4
        .value_kind:     by_value
      - .actual_access:  read_only
        .address_space:  global
        .offset:         64
        .size:           8
        .value_kind:     global_buffer
      - .actual_access:  read_only
        .address_space:  global
        .offset:         72
        .size:           8
        .value_kind:     global_buffer
      - .address_space:  global
        .offset:         80
        .size:           8
        .value_kind:     global_buffer
    .group_segment_fixed_size: 0
    .kernarg_segment_align: 8
    .kernarg_segment_size: 88
    .language:       OpenCL C
    .language_version:
      - 2
      - 0
    .max_flat_workgroup_size: 60
    .name:           fft_rtc_back_len200_factors_10_10_2_wgs_60_tpt_20_halfLds_dp_ip_CI_unitstride_sbrr_R2C_dirReg
    .private_segment_fixed_size: 0
    .sgpr_count:     26
    .sgpr_spill_count: 0
    .symbol:         fft_rtc_back_len200_factors_10_10_2_wgs_60_tpt_20_halfLds_dp_ip_CI_unitstride_sbrr_R2C_dirReg.kd
    .uniform_work_group_size: 1
    .uses_dynamic_stack: false
    .vgpr_count:     118
    .vgpr_spill_count: 0
    .wavefront_size: 64
amdhsa.target:   amdgcn-amd-amdhsa--gfx906
amdhsa.version:
  - 1
  - 2
...

	.end_amdgpu_metadata
